;; amdgpu-corpus repo=llvm/llvm-project kind=harvested arch=n/a opt=n/a
// NOTE: Assertions have been autogenerated by utils/update_mc_test_checks.py UTC_ARGS: --version 6
// RUN: llvm-mc -triple=amdgcn -mcpu=gfx1310 -show-encoding %s | FileCheck --check-prefixes=GFX13 %s
// RUN: llvm-mc -triple=amdgcn -mcpu=gfx1310 -show-encoding %s | %extract-encodings | llvm-mc -triple=amdgcn -mcpu=gfx1310 -show-encoding -disassemble | FileCheck --check-prefixes=GFX13 %s

ds_read2_b32 v[0:1], v2
// GFX13: ds_load_2addr_b32 v[0:1], v2            ; encoding: [0x00,0x00,0xdc,0xd8,0x02,0x00,0x00,0x00]

ds_read2_b64 v[0:3], v4
// GFX13: ds_load_2addr_b64 v[0:3], v4            ; encoding: [0x00,0x00,0xdc,0xd9,0x04,0x00,0x00,0x00]

ds_read2st64_b32 v[0:1], v2
// GFX13: ds_load_2addr_stride64_b32 v[0:1], v2   ; encoding: [0x00,0x00,0xe0,0xd8,0x02,0x00,0x00,0x00]

ds_read2st64_b64 v[0:3], v4
// GFX13: ds_load_2addr_stride64_b64 v[0:3], v4   ; encoding: [0x00,0x00,0xe0,0xd9,0x04,0x00,0x00,0x00]

ds_read_addtid_b32 v0
// GFX13: ds_load_addtid_b32 v0                   ; encoding: [0x00,0x00,0xc4,0xda,0x00,0x00,0x00,0x00]

ds_read_b32 v0, v1
// GFX13: ds_load_b32 v0, v1                      ; encoding: [0x00,0x00,0xd8,0xd8,0x01,0x00,0x00,0x00]

ds_read_b64 v[0:1], v2
// GFX13: ds_load_b64 v[0:1], v2                  ; encoding: [0x00,0x00,0xd8,0xd9,0x02,0x00,0x00,0x00]

ds_read_b96 v[0:2], v3
// GFX13: ds_load_b96 v[0:2], v3                  ; encoding: [0x00,0x00,0xf8,0xdb,0x03,0x00,0x00,0x00]

ds_read_b128 v[0:3], v4
// GFX13: ds_load_b128 v[0:3], v4                 ; encoding: [0x00,0x00,0xfc,0xdb,0x04,0x00,0x00,0x00]

ds_read_i8 v0, v1
// GFX13: ds_load_i8 v0, v1                       ; encoding: [0x00,0x00,0xe4,0xd8,0x01,0x00,0x00,0x00]

ds_read_i8_d16 v0, v1
// GFX13: ds_load_i8_d16 v0, v1                   ; encoding: [0x00,0x00,0x90,0xda,0x01,0x00,0x00,0x00]

ds_read_i8_d16_hi v0, v1
// GFX13: ds_load_i8_d16_hi v0, v1                ; encoding: [0x00,0x00,0x94,0xda,0x01,0x00,0x00,0x00]

ds_read_i16 v0, v1
// GFX13: ds_load_i16 v0, v1                      ; encoding: [0x00,0x00,0xec,0xd8,0x01,0x00,0x00,0x00]

ds_read_u8 v0, v1
// GFX13: ds_load_u8 v0, v1                       ; encoding: [0x00,0x00,0xe8,0xd8,0x01,0x00,0x00,0x00]

ds_read_u8_d16 v0, v1
// GFX13: ds_load_u8_d16 v0, v1                   ; encoding: [0x00,0x00,0x88,0xda,0x01,0x00,0x00,0x00]

ds_read_u8_d16_hi v0, v1
// GFX13: ds_load_u8_d16_hi v0, v1                ; encoding: [0x00,0x00,0x8c,0xda,0x01,0x00,0x00,0x00]

ds_read_u16 v0, v1
// GFX13: ds_load_u16 v0, v1                      ; encoding: [0x00,0x00,0xf0,0xd8,0x01,0x00,0x00,0x00]

ds_read_u16_d16 v0, v1
// GFX13: ds_load_u16_d16 v0, v1                  ; encoding: [0x00,0x00,0x98,0xda,0x01,0x00,0x00,0x00]

ds_read_u16_d16_hi v0, v1
// GFX13: ds_load_u16_d16_hi v0, v1               ; encoding: [0x00,0x00,0x9c,0xda,0x01,0x00,0x00,0x00]

ds_write2_b32 v0, v1, v2
// GFX13: ds_store_2addr_b32 v0, v1, v2           ; encoding: [0x00,0x00,0x38,0xd8,0x00,0x01,0x02,0x00]

ds_write2_b64 v0, v[1:2], v[3:4]
// GFX13: ds_store_2addr_b64 v0, v[1:2], v[3:4]   ; encoding: [0x00,0x00,0x38,0xd9,0x00,0x01,0x03,0x00]

ds_write2st64_b32 v0, v1, v2
// GFX13: ds_store_2addr_stride64_b32 v0, v1, v2  ; encoding: [0x00,0x00,0x3c,0xd8,0x00,0x01,0x02,0x00]

ds_write2st64_b64 v0, v[1:2], v[3:4]
// GFX13: ds_store_2addr_stride64_b64 v0, v[1:2], v[3:4] ; encoding: [0x00,0x00,0x3c,0xd9,0x00,0x01,0x03,0x00]

ds_write_addtid_b32 v0
// GFX13: ds_store_addtid_b32 v0                  ; encoding: [0x00,0x00,0xc0,0xda,0x00,0x00,0x00,0x00]

ds_write_b8 v0, v1
// GFX13: ds_store_b8 v0, v1                      ; encoding: [0x00,0x00,0x78,0xd8,0x00,0x01,0x00,0x00]

ds_write_b8_d16_hi v0, v1
// GFX13: ds_store_b8_d16_hi v0, v1               ; encoding: [0x00,0x00,0x80,0xda,0x00,0x01,0x00,0x00]

ds_write_b16 v0, v1
// GFX13: ds_store_b16 v0, v1                     ; encoding: [0x00,0x00,0x7c,0xd8,0x00,0x01,0x00,0x00]

ds_write_b16_d16_hi v0, v1
// GFX13: ds_store_b16_d16_hi v0, v1              ; encoding: [0x00,0x00,0x84,0xda,0x00,0x01,0x00,0x00]

ds_write_b32 v0, v1
// GFX13: ds_store_b32 v0, v1                     ; encoding: [0x00,0x00,0x34,0xd8,0x00,0x01,0x00,0x00]

ds_write_b64 v0, v[1:2]
// GFX13: ds_store_b64 v0, v[1:2]                 ; encoding: [0x00,0x00,0x34,0xd9,0x00,0x01,0x00,0x00]

ds_write_b96 v0, v[1:3]
// GFX13: ds_store_b96 v0, v[1:3]                 ; encoding: [0x00,0x00,0x78,0xdb,0x00,0x01,0x00,0x00]

ds_write_b128 v0, v[1:4]
// GFX13: ds_store_b128 v0, v[1:4]                ; encoding: [0x00,0x00,0x7c,0xdb,0x00,0x01,0x00,0x00]

ds_max_f32 v0, v1
// GFX13: ds_max_num_f32 v0, v1                   ; encoding: [0x00,0x00,0x4c,0xd8,0x00,0x01,0x00,0x00]

ds_max_f64 v0, v[1:2]
// GFX13: ds_max_num_f64 v0, v[1:2]               ; encoding: [0x00,0x00,0x4c,0xd9,0x00,0x01,0x00,0x00]

ds_max_rtn_f32 v0, v1, v2
// GFX13: ds_max_num_rtn_f32 v0, v1, v2           ; encoding: [0x00,0x00,0xcc,0xd8,0x01,0x02,0x00,0x00]

ds_max_rtn_f64 v[0:1], v2, v[3:4]
// GFX13: ds_max_num_rtn_f64 v[0:1], v2, v[3:4]   ; encoding: [0x00,0x00,0xcc,0xd9,0x02,0x03,0x00,0x00]

ds_min_f32 v0, v1
// GFX13: ds_min_num_f32 v0, v1                   ; encoding: [0x00,0x00,0x48,0xd8,0x00,0x01,0x00,0x00]

ds_min_f64 v0, v[1:2]
// GFX13: ds_min_num_f64 v0, v[1:2]               ; encoding: [0x00,0x00,0x48,0xd9,0x00,0x01,0x00,0x00]

ds_min_rtn_f32 v0, v1, v2
// GFX13: ds_min_num_rtn_f32 v0, v1, v2           ; encoding: [0x00,0x00,0xc8,0xd8,0x01,0x02,0x00,0x00]

ds_min_rtn_f64 v[0:1], v2, v[3:4]
// GFX13: ds_min_num_rtn_f64 v[0:1], v2, v[3:4]   ; encoding: [0x00,0x00,0xc8,0xd9,0x02,0x03,0x00,0x00]

ds_wrxchg2_rtn_b32 v[0:1], v2, v3, v4
// GFX13: ds_storexchg_2addr_rtn_b32 v[0:1], v2, v3, v4 ; encoding: [0x00,0x00,0xb8,0xd8,0x02,0x03,0x04,0x00]

ds_wrxchg2_rtn_b64 v[0:3], v4, v[5:6], v[7:8]
// GFX13: ds_storexchg_2addr_rtn_b64 v[0:3], v4, v[5:6], v[7:8] ; encoding: [0x00,0x00,0xb8,0xd9,0x04,0x05,0x07,0x00]

ds_wrxchg2st64_rtn_b32 v[0:1], v2, v3, v4
// GFX13: ds_storexchg_2addr_stride64_rtn_b32 v[0:1], v2, v3, v4 ; encoding: [0x00,0x00,0xbc,0xd8,0x02,0x03,0x04,0x00]

ds_wrxchg2st64_rtn_b64 v[0:3], v4, v[5:6], v[7:8]
// GFX13: ds_storexchg_2addr_stride64_rtn_b64 v[0:3], v4, v[5:6], v[7:8] ; encoding: [0x00,0x00,0xbc,0xd9,0x04,0x05,0x07,0x00]

ds_wrxchg_rtn_b32 v0, v1, v2
// GFX13: ds_storexchg_rtn_b32 v0, v1, v2         ; encoding: [0x00,0x00,0xb4,0xd8,0x01,0x02,0x00,0x00]

ds_wrxchg_rtn_b64 v[0:1], v2, v[3:4]
// GFX13: ds_storexchg_rtn_b64 v[0:1], v2, v[3:4] ; encoding: [0x00,0x00,0xb4,0xd9,0x02,0x03,0x00,0x00]

ds_load_tr_b64 v[1:2], v0
// GFX13: ds_load_tr8_b64 v[1:2], v0              ; encoding: [0x00,0x00,0xf4,0xdb,0x00,0x00,0x00,0x01]

ds_load_tr_b128 v[1:4], v0
// GFX13: ds_load_tr16_b128 v[1:4], v0            ; encoding: [0x00,0x00,0xf0,0xdb,0x00,0x00,0x00,0x01]
